;; amdgpu-corpus repo=FlagOpen/FlagGems kind=triton arch=gfx950 opt=O3 lang=triton
	.amdgcn_target "amdgcn-amd-amdhsa--gfx950"
	.amdhsa_code_object_version 5
	.text
	.globl	softmax_backward_kernel_inner   ; -- Begin function softmax_backward_kernel_inner
	.p2align	8
	.type	softmax_backward_kernel_inner,@function
softmax_backward_kernel_inner:          ; @softmax_backward_kernel_inner
.Lfunc_begin0:
	.cfi_sections .debug_frame
	.cfi_startproc
; %bb.103:
	.file	1 "/root/src/amdgpu-assembly/repos/FlagOpen__FlagGems/triton_aot_kernels" "softmax_aot.py"
	.loc	1 142 0 prologue_end            ; softmax_aot.py:142:0
	s_load_dwordx2 s[2:3], s[0:1], 0x0
	s_load_dwordx8 s[4:11], s[0:1], 0x8
	s_load_dwordx2 s[12:13], s[0:1], 0x28
	s_waitcnt lgkmcnt(0)
	s_branch .LBB0_0
	.loc	1 0 0 is_stmt 0                 ; :0:0
.Ltmp0:
	.p2align	8
; %bb.104:
.LBB0_0:
.Ltmp1:
	.file	2 "/root/.local/lib/python3.13/site-packages/triton/language" "standard.py"
	.loc	2 293 36 is_stmt 1              ; standard.py:293:36 @[ softmax_aot.py:160:49 ]
	v_readfirstlane_b32 s33, v0
.Ltmp2:
	.loc	1 153 24                        ; softmax_aot.py:153:24
	s_lshl_b32 s42, s14, 2
	.loc	1 155 33                        ; softmax_aot.py:155:33
	v_and_b32_e32 v41, 63, v0
	s_and_b32 s0, s33, 0xc0
	v_or_b32_e32 v26, s0, v41
	.loc	1 156 39                        ; softmax_aot.py:156:39
	s_mul_i32 s43, s9, s42
	.loc	1 157 37                        ; softmax_aot.py:157:37
	s_cmp_lt_i32 s42, s8
	.loc	1 156 43                        ; softmax_aot.py:156:43
	v_add_u32_e32 v2, s43, v26
	.loc	1 157 37                        ; softmax_aot.py:157:37
	s_cselect_b64 s[20:21], -1, 0
	.loc	1 157 55 is_stmt 0              ; softmax_aot.py:157:55
	v_cmp_gt_i32_e32 vcc, s9, v26
	.loc	1 158 27 is_stmt 1              ; softmax_aot.py:158:27
	v_mov_b32_e32 v1, 0
	.loc	1 157 43                        ; softmax_aot.py:157:43
	s_and_b64 s[14:15], s[20:21], vcc
	v_ashrrev_i32_e32 v3, 31, v2
	v_mov_b32_e32 v34, v1
	.loc	1 158 27                        ; softmax_aot.py:158:27
	s_and_saveexec_b64 s[0:1], s[14:15]
	s_cbranch_execz .LBB0_2
; %bb.1:
	.loc	1 0 27 is_stmt 0                ; softmax_aot.py:0:27
	v_lshl_add_u64 v[4:5], v[2:3], 2, s[2:3]
	.loc	1 158 27                        ; softmax_aot.py:158:27
	global_load_dword v34, v[4:5], off
.LBB0_2:
	.loc	1 0 27                          ; softmax_aot.py:0:27
	s_or_b64 exec, exec, s[0:1]
	.loc	1 155 33 is_stmt 1              ; softmax_aot.py:155:33
	v_or_b32_e32 v28, 0x100, v26
	.loc	1 156 43                        ; softmax_aot.py:156:43
	v_add_u32_e32 v4, s43, v28
	.loc	1 157 55                        ; softmax_aot.py:157:55
	v_cmp_gt_i32_e64 s[0:1], s9, v28
	.loc	1 157 43 is_stmt 0              ; softmax_aot.py:157:43
	s_and_b64 s[16:17], s[20:21], s[0:1]
	.loc	1 158 37 is_stmt 1              ; softmax_aot.py:158:37
	v_ashrrev_i32_e32 v5, 31, v4
	.loc	1 158 27 is_stmt 0              ; softmax_aot.py:158:27
	s_and_saveexec_b64 s[10:11], s[16:17]
	s_cbranch_execz .LBB0_4
; %bb.3:
	.loc	1 158 37                        ; softmax_aot.py:158:37
	v_lshl_add_u64 v[6:7], v[4:5], 2, s[2:3]
	.loc	1 158 27                        ; softmax_aot.py:158:27
	global_load_dword v1, v[6:7], off
.LBB0_4:
	.loc	1 0 27                          ; softmax_aot.py:0:27
	s_or_b64 exec, exec, s[10:11]
	.loc	1 155 33 is_stmt 1              ; softmax_aot.py:155:33
	v_or_b32_e32 v30, 0x200, v26
	.loc	1 156 43                        ; softmax_aot.py:156:43
	v_add_u32_e32 v6, s43, v30
	.loc	1 157 55                        ; softmax_aot.py:157:55
	v_cmp_gt_i32_e64 s[12:13], s9, v30
	.loc	1 158 27                        ; softmax_aot.py:158:27
	v_mov_b32_e32 v35, 0
	.loc	1 157 43                        ; softmax_aot.py:157:43
	s_and_b64 s[18:19], s[20:21], s[12:13]
	.loc	1 158 37                        ; softmax_aot.py:158:37
	v_ashrrev_i32_e32 v7, 31, v6
	v_mov_b32_e32 v36, v35
	.loc	1 158 27 is_stmt 0              ; softmax_aot.py:158:27
	s_and_saveexec_b64 s[10:11], s[18:19]
	s_cbranch_execz .LBB0_6
; %bb.5:
	.loc	1 158 37                        ; softmax_aot.py:158:37
	v_lshl_add_u64 v[8:9], v[6:7], 2, s[2:3]
	.loc	1 158 27                        ; softmax_aot.py:158:27
	global_load_dword v36, v[8:9], off
.LBB0_6:
	.loc	1 0 27                          ; softmax_aot.py:0:27
	s_or_b64 exec, exec, s[10:11]
	.loc	1 155 33 is_stmt 1              ; softmax_aot.py:155:33
	v_or_b32_e32 v32, 0x300, v26
	.loc	1 156 43                        ; softmax_aot.py:156:43
	v_add_u32_e32 v8, s43, v32
	.loc	1 157 55                        ; softmax_aot.py:157:55
	v_cmp_gt_i32_e64 s[10:11], s9, v32
	.loc	1 157 43 is_stmt 0              ; softmax_aot.py:157:43
	s_and_b64 s[20:21], s[20:21], s[10:11]
	.loc	1 158 37 is_stmt 1              ; softmax_aot.py:158:37
	v_ashrrev_i32_e32 v9, 31, v8
	.loc	1 158 27 is_stmt 0              ; softmax_aot.py:158:27
	s_and_saveexec_b64 s[22:23], s[20:21]
	s_cbranch_execz .LBB0_8
; %bb.7:
	.loc	1 158 37                        ; softmax_aot.py:158:37
	v_lshl_add_u64 v[10:11], v[8:9], 2, s[2:3]
	.loc	1 158 27                        ; softmax_aot.py:158:27
	global_load_dword v35, v[10:11], off
.LBB0_8:
	.loc	1 0 27                          ; softmax_aot.py:0:27
	s_or_b64 exec, exec, s[22:23]
	.loc	1 153 33 is_stmt 1              ; softmax_aot.py:153:33
	s_or_b32 s22, s42, 1
	.loc	1 156 39                        ; softmax_aot.py:156:39
	s_add_i32 s34, s43, s9
	.loc	1 157 37                        ; softmax_aot.py:157:37
	s_cmp_lt_i32 s22, s8
	.loc	1 156 43                        ; softmax_aot.py:156:43
	v_add_u32_e32 v10, s34, v26
	.loc	1 157 37                        ; softmax_aot.py:157:37
	s_cselect_b64 s[28:29], -1, 0
	.loc	1 158 27                        ; softmax_aot.py:158:27
	v_mov_b32_e32 v37, 0
	.loc	1 157 43                        ; softmax_aot.py:157:43
	s_and_b64 s[22:23], s[28:29], vcc
	.loc	1 158 37                        ; softmax_aot.py:158:37
	v_ashrrev_i32_e32 v11, 31, v10
	v_mov_b32_e32 v38, v37
	.loc	1 158 27 is_stmt 0              ; softmax_aot.py:158:27
	s_and_saveexec_b64 s[24:25], s[22:23]
	s_cbranch_execz .LBB0_10
; %bb.9:
	.loc	1 158 37                        ; softmax_aot.py:158:37
	v_lshl_add_u64 v[12:13], v[10:11], 2, s[2:3]
	.loc	1 158 27                        ; softmax_aot.py:158:27
	global_load_dword v38, v[12:13], off
.LBB0_10:
	.loc	1 0 27                          ; softmax_aot.py:0:27
	s_or_b64 exec, exec, s[24:25]
	.loc	1 156 43 is_stmt 1              ; softmax_aot.py:156:43
	v_add_u32_e32 v12, s34, v28
	.loc	1 157 43                        ; softmax_aot.py:157:43
	s_and_b64 s[24:25], s[28:29], s[0:1]
	.loc	1 158 37                        ; softmax_aot.py:158:37
	v_ashrrev_i32_e32 v13, 31, v12
	.loc	1 158 27 is_stmt 0              ; softmax_aot.py:158:27
	s_and_saveexec_b64 s[26:27], s[24:25]
	s_cbranch_execz .LBB0_12
; %bb.11:
	.loc	1 158 37                        ; softmax_aot.py:158:37
	v_lshl_add_u64 v[14:15], v[12:13], 2, s[2:3]
	.loc	1 158 27                        ; softmax_aot.py:158:27
	global_load_dword v37, v[14:15], off
.LBB0_12:
	.loc	1 0 27                          ; softmax_aot.py:0:27
	s_or_b64 exec, exec, s[26:27]
	.loc	1 156 43 is_stmt 1              ; softmax_aot.py:156:43
	v_add_u32_e32 v14, s34, v30
	.loc	1 158 27                        ; softmax_aot.py:158:27
	v_mov_b32_e32 v39, 0
	.loc	1 157 43                        ; softmax_aot.py:157:43
	s_and_b64 s[26:27], s[28:29], s[12:13]
	.loc	1 158 37                        ; softmax_aot.py:158:37
	v_ashrrev_i32_e32 v15, 31, v14
	v_mov_b32_e32 v40, v39
	.loc	1 158 27 is_stmt 0              ; softmax_aot.py:158:27
	s_and_saveexec_b64 s[30:31], s[26:27]
	s_cbranch_execz .LBB0_14
; %bb.13:
	.loc	1 158 37                        ; softmax_aot.py:158:37
	v_lshl_add_u64 v[16:17], v[14:15], 2, s[2:3]
	.loc	1 158 27                        ; softmax_aot.py:158:27
	global_load_dword v40, v[16:17], off
.LBB0_14:
	.loc	1 0 27                          ; softmax_aot.py:0:27
	s_or_b64 exec, exec, s[30:31]
	.loc	1 156 43 is_stmt 1              ; softmax_aot.py:156:43
	v_add_u32_e32 v16, s34, v32
	.loc	1 157 43                        ; softmax_aot.py:157:43
	s_and_b64 s[28:29], s[28:29], s[10:11]
	.loc	1 158 37                        ; softmax_aot.py:158:37
	v_ashrrev_i32_e32 v17, 31, v16
	.loc	1 158 27 is_stmt 0              ; softmax_aot.py:158:27
	s_and_saveexec_b64 s[30:31], s[28:29]
	s_cbranch_execz .LBB0_16
; %bb.15:
	.loc	1 158 37                        ; softmax_aot.py:158:37
	v_lshl_add_u64 v[18:19], v[16:17], 2, s[2:3]
	.loc	1 158 27                        ; softmax_aot.py:158:27
	global_load_dword v39, v[18:19], off
.LBB0_16:
	.loc	1 0 27                          ; softmax_aot.py:0:27
	s_or_b64 exec, exec, s[30:31]
	.loc	1 153 33 is_stmt 1              ; softmax_aot.py:153:33
	s_or_b32 s30, s42, 2
	.loc	1 156 39                        ; softmax_aot.py:156:39
	s_lshl1_add_u32 s44, s9, s43
	.loc	1 157 37                        ; softmax_aot.py:157:37
	s_cmp_lt_i32 s30, s8
	.loc	1 156 43                        ; softmax_aot.py:156:43
	v_add_u32_e32 v18, s44, v26
	.loc	1 157 37                        ; softmax_aot.py:157:37
	s_cselect_b64 s[38:39], -1, 0
	.loc	1 158 27                        ; softmax_aot.py:158:27
	v_mov_b32_e32 v42, 0
	.loc	1 157 43                        ; softmax_aot.py:157:43
	s_and_b64 s[30:31], s[38:39], vcc
	.loc	1 158 37                        ; softmax_aot.py:158:37
	v_ashrrev_i32_e32 v19, 31, v18
	v_mov_b32_e32 v43, v42
	.loc	1 158 27 is_stmt 0              ; softmax_aot.py:158:27
	s_and_saveexec_b64 s[34:35], s[30:31]
	s_cbranch_execz .LBB0_18
; %bb.17:
	.loc	1 158 37                        ; softmax_aot.py:158:37
	v_lshl_add_u64 v[20:21], v[18:19], 2, s[2:3]
	.loc	1 158 27                        ; softmax_aot.py:158:27
	global_load_dword v43, v[20:21], off
.LBB0_18:
	.loc	1 0 27                          ; softmax_aot.py:0:27
	s_or_b64 exec, exec, s[34:35]
	.loc	1 156 43 is_stmt 1              ; softmax_aot.py:156:43
	v_add_u32_e32 v20, s44, v28
	.loc	1 157 43                        ; softmax_aot.py:157:43
	s_and_b64 s[34:35], s[38:39], s[0:1]
	.loc	1 158 37                        ; softmax_aot.py:158:37
	v_ashrrev_i32_e32 v21, 31, v20
	.loc	1 158 27 is_stmt 0              ; softmax_aot.py:158:27
	s_and_saveexec_b64 s[36:37], s[34:35]
	s_cbranch_execz .LBB0_20
; %bb.19:
	.loc	1 158 37                        ; softmax_aot.py:158:37
	v_lshl_add_u64 v[22:23], v[20:21], 2, s[2:3]
	.loc	1 158 27                        ; softmax_aot.py:158:27
	global_load_dword v42, v[22:23], off
.LBB0_20:
	.loc	1 0 27                          ; softmax_aot.py:0:27
	s_or_b64 exec, exec, s[36:37]
	.loc	1 156 43 is_stmt 1              ; softmax_aot.py:156:43
	v_add_u32_e32 v22, s44, v30
	.loc	1 158 27                        ; softmax_aot.py:158:27
	v_mov_b32_e32 v44, 0
	.loc	1 157 43                        ; softmax_aot.py:157:43
	s_and_b64 s[36:37], s[38:39], s[12:13]
	.loc	1 158 37                        ; softmax_aot.py:158:37
	v_ashrrev_i32_e32 v23, 31, v22
	v_mov_b32_e32 v45, v44
	.loc	1 158 27 is_stmt 0              ; softmax_aot.py:158:27
	s_and_saveexec_b64 s[40:41], s[36:37]
	s_cbranch_execz .LBB0_22
; %bb.21:
	.loc	1 158 37                        ; softmax_aot.py:158:37
	v_lshl_add_u64 v[24:25], v[22:23], 2, s[2:3]
	.loc	1 158 27                        ; softmax_aot.py:158:27
	global_load_dword v45, v[24:25], off
.LBB0_22:
	.loc	1 0 27                          ; softmax_aot.py:0:27
	s_or_b64 exec, exec, s[40:41]
	.loc	1 156 43 is_stmt 1              ; softmax_aot.py:156:43
	v_add_u32_e32 v24, s44, v32
	.loc	1 157 43                        ; softmax_aot.py:157:43
	s_and_b64 s[38:39], s[38:39], s[10:11]
	.loc	1 158 37                        ; softmax_aot.py:158:37
	v_ashrrev_i32_e32 v25, 31, v24
	.loc	1 158 27 is_stmt 0              ; softmax_aot.py:158:27
	s_and_saveexec_b64 s[40:41], s[38:39]
	s_cbranch_execz .LBB0_24
; %bb.23:
	.loc	1 158 37                        ; softmax_aot.py:158:37
	v_lshl_add_u64 v[46:47], v[24:25], 2, s[2:3]
	.loc	1 158 27                        ; softmax_aot.py:158:27
	global_load_dword v44, v[46:47], off
.LBB0_24:
	.loc	1 0 27                          ; softmax_aot.py:0:27
	s_or_b64 exec, exec, s[40:41]
	.loc	1 156 39 is_stmt 1              ; softmax_aot.py:156:39
	s_mul_i32 s9, s9, 3
	.loc	1 153 33                        ; softmax_aot.py:153:33
	s_or_b32 s40, s42, 3
	.loc	1 156 39                        ; softmax_aot.py:156:39
	s_add_i32 s44, s43, s9
	.loc	1 157 37                        ; softmax_aot.py:157:37
	s_cmp_lt_i32 s40, s8
	.loc	1 156 43                        ; softmax_aot.py:156:43
	v_add_u32_e32 v26, s44, v26
	.loc	1 157 37                        ; softmax_aot.py:157:37
	s_cselect_b64 s[42:43], -1, 0
	.loc	1 158 27                        ; softmax_aot.py:158:27
	v_mov_b32_e32 v46, 0
	.loc	1 157 43                        ; softmax_aot.py:157:43
	s_and_b64 s[8:9], s[42:43], vcc
	.loc	1 158 37                        ; softmax_aot.py:158:37
	v_ashrrev_i32_e32 v27, 31, v26
	v_mov_b32_e32 v47, v46
	.loc	1 158 27 is_stmt 0              ; softmax_aot.py:158:27
	s_and_saveexec_b64 s[40:41], s[8:9]
	s_cbranch_execz .LBB0_26
; %bb.25:
	.loc	1 158 37                        ; softmax_aot.py:158:37
	v_lshl_add_u64 v[48:49], v[26:27], 2, s[2:3]
	.loc	1 158 27                        ; softmax_aot.py:158:27
	global_load_dword v47, v[48:49], off
.LBB0_26:
	.loc	1 0 27                          ; softmax_aot.py:0:27
	s_or_b64 exec, exec, s[40:41]
	.loc	1 156 43 is_stmt 1              ; softmax_aot.py:156:43
	v_add_u32_e32 v28, s44, v28
	.loc	1 157 43                        ; softmax_aot.py:157:43
	s_and_b64 s[40:41], s[42:43], s[0:1]
	.loc	1 158 37                        ; softmax_aot.py:158:37
	v_ashrrev_i32_e32 v29, 31, v28
	.loc	1 158 27 is_stmt 0              ; softmax_aot.py:158:27
	s_and_saveexec_b64 s[0:1], s[40:41]
	s_cbranch_execz .LBB0_28
; %bb.27:
	.loc	1 158 37                        ; softmax_aot.py:158:37
	v_lshl_add_u64 v[48:49], v[28:29], 2, s[2:3]
	.loc	1 158 27                        ; softmax_aot.py:158:27
	global_load_dword v46, v[48:49], off
.LBB0_28:
	.loc	1 0 27                          ; softmax_aot.py:0:27
	s_or_b64 exec, exec, s[0:1]
	.loc	1 156 43 is_stmt 1              ; softmax_aot.py:156:43
	v_add_u32_e32 v30, s44, v30
	.loc	1 158 27                        ; softmax_aot.py:158:27
	v_mov_b32_e32 v48, 0
	.loc	1 157 43                        ; softmax_aot.py:157:43
	s_and_b64 s[12:13], s[42:43], s[12:13]
	.loc	1 158 37                        ; softmax_aot.py:158:37
	v_ashrrev_i32_e32 v31, 31, v30
	v_mov_b32_e32 v49, v48
	.loc	1 158 27 is_stmt 0              ; softmax_aot.py:158:27
	s_and_saveexec_b64 s[0:1], s[12:13]
	s_cbranch_execz .LBB0_30
; %bb.29:
	.loc	1 158 37                        ; softmax_aot.py:158:37
	v_lshl_add_u64 v[50:51], v[30:31], 2, s[2:3]
	.loc	1 158 27                        ; softmax_aot.py:158:27
	global_load_dword v49, v[50:51], off
.LBB0_30:
	.loc	1 0 27                          ; softmax_aot.py:0:27
	s_or_b64 exec, exec, s[0:1]
	.loc	1 156 43 is_stmt 1              ; softmax_aot.py:156:43
	v_add_u32_e32 v32, s44, v32
	.loc	1 157 43                        ; softmax_aot.py:157:43
	s_and_b64 s[10:11], s[42:43], s[10:11]
	.loc	1 158 37                        ; softmax_aot.py:158:37
	v_ashrrev_i32_e32 v33, 31, v32
	.loc	1 158 27 is_stmt 0              ; softmax_aot.py:158:27
	s_and_saveexec_b64 s[0:1], s[10:11]
	s_cbranch_execz .LBB0_32
; %bb.31:
	.loc	1 158 37                        ; softmax_aot.py:158:37
	v_lshl_add_u64 v[50:51], v[32:33], 2, s[2:3]
	.loc	1 158 27                        ; softmax_aot.py:158:27
	global_load_dword v48, v[50:51], off
.LBB0_32:
	.loc	1 0 27                          ; softmax_aot.py:0:27
	s_or_b64 exec, exec, s[0:1]
	.loc	1 159 32 is_stmt 1              ; softmax_aot.py:159:32
	v_mov_b32_e32 v50, 0
	v_mov_b32_e32 v53, v50
	s_and_saveexec_b64 s[0:1], s[14:15]
	s_cbranch_execz .LBB0_34
; %bb.33:
	.loc	1 0 32 is_stmt 0                ; softmax_aot.py:0:32
	v_lshl_add_u64 v[52:53], v[2:3], 2, s[4:5]
	.loc	1 159 32                        ; softmax_aot.py:159:32
	global_load_dword v53, v[52:53], off
.LBB0_34:
	.loc	1 0 32                          ; softmax_aot.py:0:32
	s_or_b64 exec, exec, s[0:1]
	.loc	1 159 32                        ; softmax_aot.py:159:32
	s_and_saveexec_b64 s[0:1], s[16:17]
	s_cbranch_execz .LBB0_36
; %bb.35:
	.loc	1 159 47                        ; softmax_aot.py:159:47
	v_lshl_add_u64 v[50:51], v[4:5], 2, s[4:5]
	.loc	1 159 32                        ; softmax_aot.py:159:32
	global_load_dword v50, v[50:51], off
.LBB0_36:
	.loc	1 0 32                          ; softmax_aot.py:0:32
	s_or_b64 exec, exec, s[0:1]
	.loc	1 159 32                        ; softmax_aot.py:159:32
	v_mov_b32_e32 v51, 0
	v_mov_b32_e32 v55, v51
	s_and_saveexec_b64 s[0:1], s[18:19]
	s_cbranch_execz .LBB0_38
; %bb.37:
	.loc	1 159 47                        ; softmax_aot.py:159:47
	v_lshl_add_u64 v[54:55], v[6:7], 2, s[4:5]
	.loc	1 159 32                        ; softmax_aot.py:159:32
	global_load_dword v55, v[54:55], off
.LBB0_38:
	.loc	1 0 32                          ; softmax_aot.py:0:32
	s_or_b64 exec, exec, s[0:1]
	.loc	1 159 32                        ; softmax_aot.py:159:32
	s_and_saveexec_b64 s[0:1], s[20:21]
	s_cbranch_execz .LBB0_40
; %bb.39:
	.loc	1 159 47                        ; softmax_aot.py:159:47
	v_lshl_add_u64 v[56:57], v[8:9], 2, s[4:5]
	.loc	1 159 32                        ; softmax_aot.py:159:32
	global_load_dword v51, v[56:57], off
.LBB0_40:
	.loc	1 0 32                          ; softmax_aot.py:0:32
	s_or_b64 exec, exec, s[0:1]
	.loc	1 159 32                        ; softmax_aot.py:159:32
	v_mov_b32_e32 v52, 0
	v_mov_b32_e32 v57, v52
	s_and_saveexec_b64 s[0:1], s[22:23]
	s_cbranch_execz .LBB0_42
; %bb.41:
	.loc	1 159 47                        ; softmax_aot.py:159:47
	v_lshl_add_u64 v[56:57], v[10:11], 2, s[4:5]
	.loc	1 159 32                        ; softmax_aot.py:159:32
	global_load_dword v57, v[56:57], off
.LBB0_42:
	;; [unrolled: 24-line block ×7, first 2 shown]
	.loc	1 0 32                          ; softmax_aot.py:0:32
	s_or_b64 exec, exec, s[0:1]
	.loc	1 159 32                        ; softmax_aot.py:159:32
	s_and_saveexec_b64 s[0:1], s[10:11]
	s_cbranch_execz .LBB0_64
; %bb.63:
	.loc	1 159 47                        ; softmax_aot.py:159:47
	v_lshl_add_u64 v[66:67], v[32:33], 2, s[4:5]
	.loc	1 159 32                        ; softmax_aot.py:159:32
	global_load_dword v62, v[66:67], off
.LBB0_64:
	.loc	1 0 32                          ; softmax_aot.py:0:32
	s_or_b64 exec, exec, s[0:1]
.Ltmp3:
	.loc	2 263 15 is_stmt 1              ; standard.py:263:15 @[ standard.py:293:36 @[ softmax_aot.py:160:49 ] ]
	s_waitcnt vmcnt(0)
	v_mul_f32_e32 v66, v34, v53
	v_fmac_f32_e32 v66, v1, v50
	v_fmac_f32_e32 v66, v36, v55
	;; [unrolled: 1-line block ×3, first 2 shown]
	v_mul_f32_e32 v67, v38, v57
	v_fmac_f32_e32 v67, v37, v52
	v_add_f32_dpp v66, v66, v66 row_shr:8 row_mask:0xf bank_mask:0xf bound_ctrl:1
	v_fmac_f32_e32 v67, v40, v59
	v_fmac_f32_e32 v67, v39, v54
	v_add_f32_dpp v66, v66, v66 row_shr:4 row_mask:0xf bank_mask:0xf bound_ctrl:1
	v_mul_f32_e32 v68, v43, v61
	v_fmac_f32_e32 v68, v42, v56
	v_add_f32_dpp v66, v66, v66 row_shr:2 row_mask:0xf bank_mask:0xf bound_ctrl:1
	v_fmac_f32_e32 v68, v45, v63
	v_fmac_f32_e32 v68, v44, v58
	v_add_f32_dpp v66, v66, v66 row_shr:1 row_mask:0xf bank_mask:0xf bound_ctrl:1
.Ltmp4:
	.loc	2 293 36                        ; standard.py:293:36 @[ softmax_aot.py:160:49 ]
	v_mov_b32_e32 v70, v66
.Ltmp5:
	.loc	2 263 15                        ; standard.py:263:15 @[ standard.py:293:36 @[ softmax_aot.py:160:49 ] ]
	v_mul_f32_e32 v69, v47, v64
	v_fmac_f32_e32 v69, v46, v60
.Ltmp6:
	.loc	2 293 36                        ; standard.py:293:36 @[ softmax_aot.py:160:49 ]
	v_mov_b32_dpp v70, v70 row_bcast:15 row_mask:0xa bank_mask:0xf bound_ctrl:1
.Ltmp7:
	.loc	2 263 15                        ; standard.py:263:15 @[ standard.py:293:36 @[ softmax_aot.py:160:49 ] ]
	v_add_f32_e32 v66, v66, v70
	v_fmac_f32_e32 v69, v49, v65
	v_fmac_f32_e32 v69, v48, v62
	v_add_f32_dpp v66, v66, v66 row_bcast:31 row_mask:0xf bank_mask:0xf bound_ctrl:1
.Ltmp8:
	.loc	2 293 36                        ; standard.py:293:36 @[ softmax_aot.py:160:49 ]
	v_cmp_eq_u32_e32 vcc, 0, v41
	v_readlane_b32 s2, v66, 63
.Ltmp9:
	.loc	2 263 15                        ; standard.py:263:15 @[ standard.py:293:36 @[ softmax_aot.py:160:49 ] ]
	v_add_f32_dpp v66, v67, v67 row_shr:8 row_mask:0xf bank_mask:0xf bound_ctrl:1
	s_nop 1
	v_add_f32_dpp v66, v66, v66 row_shr:4 row_mask:0xf bank_mask:0xf bound_ctrl:1
	s_nop 1
	;; [unrolled: 2-line block ×3, first 2 shown]
	v_add_f32_dpp v66, v66, v66 row_shr:1 row_mask:0xf bank_mask:0xf bound_ctrl:1
.Ltmp10:
	.loc	2 293 36                        ; standard.py:293:36 @[ softmax_aot.py:160:49 ]
	v_mov_b32_e32 v67, v66
	s_nop 1
	v_mov_b32_dpp v67, v67 row_bcast:15 row_mask:0xa bank_mask:0xf bound_ctrl:1
.Ltmp11:
	.loc	2 263 15                        ; standard.py:263:15 @[ standard.py:293:36 @[ softmax_aot.py:160:49 ] ]
	v_add_f32_e32 v66, v66, v67
	s_nop 1
	v_add_f32_dpp v66, v66, v66 row_bcast:31 row_mask:0xf bank_mask:0xf bound_ctrl:1
.Ltmp12:
	.loc	2 293 36                        ; standard.py:293:36 @[ softmax_aot.py:160:49 ]
	s_nop 0
	v_readlane_b32 s3, v66, 63
.Ltmp13:
	.loc	2 263 15                        ; standard.py:263:15 @[ standard.py:293:36 @[ softmax_aot.py:160:49 ] ]
	v_add_f32_dpp v66, v68, v68 row_shr:8 row_mask:0xf bank_mask:0xf bound_ctrl:1
	s_nop 1
	v_add_f32_dpp v66, v66, v66 row_shr:4 row_mask:0xf bank_mask:0xf bound_ctrl:1
	s_nop 1
	;; [unrolled: 2-line block ×3, first 2 shown]
	v_add_f32_dpp v66, v66, v66 row_shr:1 row_mask:0xf bank_mask:0xf bound_ctrl:1
.Ltmp14:
	.loc	2 293 36                        ; standard.py:293:36 @[ softmax_aot.py:160:49 ]
	v_mov_b32_e32 v67, v66
	s_nop 1
	v_mov_b32_dpp v67, v67 row_bcast:15 row_mask:0xa bank_mask:0xf bound_ctrl:1
.Ltmp15:
	.loc	2 263 15                        ; standard.py:263:15 @[ standard.py:293:36 @[ softmax_aot.py:160:49 ] ]
	v_add_f32_e32 v66, v66, v67
	s_nop 1
	v_add_f32_dpp v66, v66, v66 row_bcast:31 row_mask:0xf bank_mask:0xf bound_ctrl:1
.Ltmp16:
	.loc	2 293 36                        ; standard.py:293:36 @[ softmax_aot.py:160:49 ]
	s_nop 0
	v_readlane_b32 s4, v66, 63
.Ltmp17:
	.loc	2 263 15                        ; standard.py:263:15 @[ standard.py:293:36 @[ softmax_aot.py:160:49 ] ]
	v_add_f32_dpp v66, v69, v69 row_shr:8 row_mask:0xf bank_mask:0xf bound_ctrl:1
	s_nop 1
	v_add_f32_dpp v66, v66, v66 row_shr:4 row_mask:0xf bank_mask:0xf bound_ctrl:1
	s_nop 1
	;; [unrolled: 2-line block ×3, first 2 shown]
	v_add_f32_dpp v66, v66, v66 row_shr:1 row_mask:0xf bank_mask:0xf bound_ctrl:1
.Ltmp18:
	.loc	2 293 36                        ; standard.py:293:36 @[ softmax_aot.py:160:49 ]
	v_mov_b32_e32 v67, v66
	s_nop 1
	v_mov_b32_dpp v67, v67 row_bcast:15 row_mask:0xa bank_mask:0xf bound_ctrl:1
.Ltmp19:
	.loc	2 263 15                        ; standard.py:263:15 @[ standard.py:293:36 @[ softmax_aot.py:160:49 ] ]
	v_add_f32_e32 v66, v66, v67
	s_nop 1
	v_add_f32_dpp v66, v66, v66 row_bcast:31 row_mask:0xf bank_mask:0xf bound_ctrl:1
.Ltmp20:
	.loc	2 293 36                        ; standard.py:293:36 @[ softmax_aot.py:160:49 ]
	s_nop 0
	v_readlane_b32 s5, v66, 63
	s_and_saveexec_b64 s[0:1], vcc
	s_cbranch_execz .LBB0_66
; %bb.65:                               ; %.critedge
	.loc	2 0 36 is_stmt 0                ; standard.py:0:36
	s_lshr_b32 s33, s33, 4
	s_and_b32 s33, s33, 12
	s_add_i32 s33, s33, 0
	.loc	2 293 36                        ; standard.py:293:36 @[ softmax_aot.py:160:49 ]
	v_mov_b32_e32 v41, s33
	v_mov_b32_e32 v66, s2
	;; [unrolled: 1-line block ×3, first 2 shown]
	ds_write2_b32 v41, v66, v67 offset1:4
	v_mov_b32_e32 v66, s4
	v_mov_b32_e32 v67, s5
	ds_write2_b32 v41, v66, v67 offset0:8 offset1:12
.LBB0_66:                               ; %.critedge4
	.loc	2 0 36                          ; standard.py:0:36
	s_or_b64 exec, exec, s[0:1]
	.loc	2 293 36                        ; standard.py:293:36 @[ softmax_aot.py:160:49 ]
	v_cmp_gt_u32_e32 vcc, 16, v0
	v_lshl_add_u32 v41, v0, 2, 0
.Ltmp21:
	.loc	1 160 49 is_stmt 1              ; softmax_aot.py:160:49
	v_mov_b32_e32 v66, 0
.Ltmp22:
	.loc	2 293 36                        ; standard.py:293:36 @[ softmax_aot.py:160:49 ]
	s_waitcnt lgkmcnt(0)
	s_barrier
	s_and_saveexec_b64 s[0:1], vcc
; %bb.67:
	ds_read_b32 v66, v41
; %bb.68:
	.loc	2 0 36 is_stmt 0                ; standard.py:0:36
	s_or_b64 exec, exec, s[0:1]
	.loc	2 293 36                        ; standard.py:293:36 @[ softmax_aot.py:160:49 ]
	s_waitcnt lgkmcnt(0)
	v_mov_b32_e32 v67, v66
	v_and_b32_e32 v0, 3, v0
	v_cmp_eq_u32_e64 s[0:1], 0, v0
	v_mov_b32_dpp v67, v67 quad_perm:[2,3,0,1] row_mask:0xf bank_mask:0xf
.Ltmp23:
	.loc	2 263 15 is_stmt 1              ; standard.py:263:15 @[ standard.py:293:36 @[ softmax_aot.py:160:49 ] ]
	v_add_f32_e32 v66, v66, v67
.Ltmp24:
	.loc	2 293 36                        ; standard.py:293:36 @[ softmax_aot.py:160:49 ]
	v_mov_b32_e32 v67, v66
	s_and_b64 s[2:3], vcc, s[0:1]
	s_nop 0
	v_mov_b32_dpp v67, v67 quad_perm:[1,0,3,2] row_mask:0xf bank_mask:0xf
	s_and_saveexec_b64 s[0:1], s[2:3]
; %bb.69:
	.loc	2 0 36 is_stmt 0                ; standard.py:0:36
	v_add_f32_e32 v0, v66, v67
	.loc	2 293 36                        ; standard.py:293:36 @[ softmax_aot.py:160:49 ]
	ds_write_b32 v41, v0
; %bb.70:
	.loc	2 0 36                          ; standard.py:0:36
	s_or_b64 exec, exec, s[0:1]
	.loc	2 293 36                        ; standard.py:293:36 @[ softmax_aot.py:160:49 ]
	v_mov_b32_e32 v0, 0
	s_waitcnt lgkmcnt(0)
	s_barrier
	ds_read_b32 v67, v0
	ds_read_b32 v66, v0 offset:16
	ds_read_b32 v41, v0 offset:32
	;; [unrolled: 1-line block ×3, first 2 shown]
.Ltmp25:
	.loc	1 162 40 is_stmt 1              ; softmax_aot.py:162:40
	s_and_saveexec_b64 s[0:1], s[14:15]
	s_cbranch_execnz .LBB0_87
; %bb.71:
	.loc	1 0 40 is_stmt 0                ; softmax_aot.py:0:40
	s_or_b64 exec, exec, s[0:1]
	.loc	1 162 40                        ; softmax_aot.py:162:40
	s_and_saveexec_b64 s[0:1], s[16:17]
	s_cbranch_execnz .LBB0_88
.LBB0_72:
	.loc	1 0 40                          ; softmax_aot.py:0:40
	s_or_b64 exec, exec, s[0:1]
	.loc	1 162 40                        ; softmax_aot.py:162:40
	s_and_saveexec_b64 s[0:1], s[18:19]
	s_cbranch_execnz .LBB0_89
.LBB0_73:
	.loc	1 0 40                          ; softmax_aot.py:0:40
	s_or_b64 exec, exec, s[0:1]
	.loc	1 162 40                        ; softmax_aot.py:162:40
	s_and_saveexec_b64 s[0:1], s[20:21]
	s_cbranch_execnz .LBB0_90
.LBB0_74:
	.loc	1 0 40                          ; softmax_aot.py:0:40
	s_or_b64 exec, exec, s[0:1]
	.loc	1 162 40                        ; softmax_aot.py:162:40
	s_and_saveexec_b64 s[0:1], s[22:23]
	s_cbranch_execnz .LBB0_91
.LBB0_75:
	.loc	1 0 40                          ; softmax_aot.py:0:40
	s_or_b64 exec, exec, s[0:1]
	.loc	1 162 40                        ; softmax_aot.py:162:40
	s_and_saveexec_b64 s[0:1], s[24:25]
	s_cbranch_execnz .LBB0_92
.LBB0_76:
	.loc	1 0 40                          ; softmax_aot.py:0:40
	s_or_b64 exec, exec, s[0:1]
	.loc	1 162 40                        ; softmax_aot.py:162:40
	s_and_saveexec_b64 s[0:1], s[26:27]
	s_cbranch_execnz .LBB0_93
.LBB0_77:
	.loc	1 0 40                          ; softmax_aot.py:0:40
	s_or_b64 exec, exec, s[0:1]
	.loc	1 162 40                        ; softmax_aot.py:162:40
	s_and_saveexec_b64 s[0:1], s[28:29]
	s_cbranch_execnz .LBB0_94
.LBB0_78:
	.loc	1 0 40                          ; softmax_aot.py:0:40
	s_or_b64 exec, exec, s[0:1]
	.loc	1 162 40                        ; softmax_aot.py:162:40
	s_and_saveexec_b64 s[0:1], s[30:31]
	s_cbranch_execnz .LBB0_95
.LBB0_79:
	.loc	1 0 40                          ; softmax_aot.py:0:40
	s_or_b64 exec, exec, s[0:1]
	.loc	1 162 40                        ; softmax_aot.py:162:40
	s_and_saveexec_b64 s[0:1], s[34:35]
	s_cbranch_execnz .LBB0_96
.LBB0_80:
	.loc	1 0 40                          ; softmax_aot.py:0:40
	s_or_b64 exec, exec, s[0:1]
	.loc	1 162 40                        ; softmax_aot.py:162:40
	s_and_saveexec_b64 s[0:1], s[36:37]
	s_cbranch_execnz .LBB0_97
.LBB0_81:
	.loc	1 0 40                          ; softmax_aot.py:0:40
	s_or_b64 exec, exec, s[0:1]
	.loc	1 162 40                        ; softmax_aot.py:162:40
	s_and_saveexec_b64 s[0:1], s[38:39]
	s_cbranch_execnz .LBB0_98
.LBB0_82:
	.loc	1 0 40                          ; softmax_aot.py:0:40
	s_or_b64 exec, exec, s[0:1]
	.loc	1 162 40                        ; softmax_aot.py:162:40
	s_and_saveexec_b64 s[0:1], s[8:9]
	s_cbranch_execnz .LBB0_99
.LBB0_83:
	.loc	1 0 40                          ; softmax_aot.py:0:40
	s_or_b64 exec, exec, s[0:1]
	.loc	1 162 40                        ; softmax_aot.py:162:40
	s_and_saveexec_b64 s[0:1], s[40:41]
	s_cbranch_execnz .LBB0_100
.LBB0_84:
	.loc	1 0 40                          ; softmax_aot.py:0:40
	s_or_b64 exec, exec, s[0:1]
	.loc	1 162 40                        ; softmax_aot.py:162:40
	s_and_saveexec_b64 s[0:1], s[12:13]
	s_cbranch_execnz .LBB0_101
.LBB0_85:
	.loc	1 0 40                          ; softmax_aot.py:0:40
	s_or_b64 exec, exec, s[0:1]
	.loc	1 162 40                        ; softmax_aot.py:162:40
	s_and_saveexec_b64 s[0:1], s[10:11]
	s_cbranch_execnz .LBB0_102
.LBB0_86:
	.loc	1 154 4 is_stmt 1               ; softmax_aot.py:154:4
	s_endpgm
.LBB0_87:
	.loc	1 0 4 is_stmt 0                 ; softmax_aot.py:0:4
	s_waitcnt lgkmcnt(3)
	v_sub_f32_e32 v53, v53, v67
	v_lshl_add_u64 v[2:3], v[2:3], 2, s[6:7]
	v_mul_f32_e32 v34, v34, v53
	.loc	1 162 40 is_stmt 1              ; softmax_aot.py:162:40
	global_store_dword v[2:3], v34, off
	s_or_b64 exec, exec, s[0:1]
	s_and_saveexec_b64 s[0:1], s[16:17]
	s_cbranch_execz .LBB0_72
.LBB0_88:
	.loc	1 161 51                        ; softmax_aot.py:161:51
	s_waitcnt lgkmcnt(3)
	v_sub_f32_e32 v2, v50, v67
	.loc	1 161 35 is_stmt 0              ; softmax_aot.py:161:35
	v_mul_f32_e32 v1, v1, v2
	.loc	1 162 31 is_stmt 1              ; softmax_aot.py:162:31
	v_lshl_add_u64 v[2:3], v[4:5], 2, s[6:7]
	.loc	1 162 40 is_stmt 0              ; softmax_aot.py:162:40
	global_store_dword v[2:3], v1, off
	s_or_b64 exec, exec, s[0:1]
	s_and_saveexec_b64 s[0:1], s[18:19]
	s_cbranch_execz .LBB0_73
.LBB0_89:
	.loc	1 161 51 is_stmt 1              ; softmax_aot.py:161:51
	s_waitcnt lgkmcnt(3)
	v_sub_f32_e32 v1, v55, v67
	.loc	1 161 35 is_stmt 0              ; softmax_aot.py:161:35
	v_mul_f32_e32 v1, v36, v1
	.loc	1 162 31 is_stmt 1              ; softmax_aot.py:162:31
	v_lshl_add_u64 v[2:3], v[6:7], 2, s[6:7]
	.loc	1 162 40 is_stmt 0              ; softmax_aot.py:162:40
	global_store_dword v[2:3], v1, off
	s_or_b64 exec, exec, s[0:1]
	s_and_saveexec_b64 s[0:1], s[20:21]
	s_cbranch_execz .LBB0_74
.LBB0_90:
	.loc	1 161 51 is_stmt 1              ; softmax_aot.py:161:51
	s_waitcnt lgkmcnt(3)
	v_sub_f32_e32 v1, v51, v67
	.loc	1 161 35 is_stmt 0              ; softmax_aot.py:161:35
	v_mul_f32_e32 v1, v35, v1
	.loc	1 162 31 is_stmt 1              ; softmax_aot.py:162:31
	v_lshl_add_u64 v[2:3], v[8:9], 2, s[6:7]
	.loc	1 162 40 is_stmt 0              ; softmax_aot.py:162:40
	global_store_dword v[2:3], v1, off
	s_or_b64 exec, exec, s[0:1]
	s_and_saveexec_b64 s[0:1], s[22:23]
	s_cbranch_execz .LBB0_75
.LBB0_91:
	.loc	1 161 51 is_stmt 1              ; softmax_aot.py:161:51
	s_waitcnt lgkmcnt(2)
	v_sub_f32_e32 v1, v57, v66
	.loc	1 161 35 is_stmt 0              ; softmax_aot.py:161:35
	v_mul_f32_e32 v1, v38, v1
	.loc	1 162 31 is_stmt 1              ; softmax_aot.py:162:31
	v_lshl_add_u64 v[2:3], v[10:11], 2, s[6:7]
	.loc	1 162 40 is_stmt 0              ; softmax_aot.py:162:40
	global_store_dword v[2:3], v1, off
	s_or_b64 exec, exec, s[0:1]
	s_and_saveexec_b64 s[0:1], s[24:25]
	s_cbranch_execz .LBB0_76
.LBB0_92:
	.loc	1 161 51 is_stmt 1              ; softmax_aot.py:161:51
	s_waitcnt lgkmcnt(2)
	v_sub_f32_e32 v1, v52, v66
	.loc	1 161 35 is_stmt 0              ; softmax_aot.py:161:35
	v_mul_f32_e32 v1, v37, v1
	.loc	1 162 31 is_stmt 1              ; softmax_aot.py:162:31
	v_lshl_add_u64 v[2:3], v[12:13], 2, s[6:7]
	.loc	1 162 40 is_stmt 0              ; softmax_aot.py:162:40
	global_store_dword v[2:3], v1, off
	s_or_b64 exec, exec, s[0:1]
	s_and_saveexec_b64 s[0:1], s[26:27]
	s_cbranch_execz .LBB0_77
.LBB0_93:
	.loc	1 161 51 is_stmt 1              ; softmax_aot.py:161:51
	s_waitcnt lgkmcnt(2)
	v_sub_f32_e32 v1, v59, v66
	.loc	1 161 35 is_stmt 0              ; softmax_aot.py:161:35
	v_mul_f32_e32 v1, v40, v1
	.loc	1 162 31 is_stmt 1              ; softmax_aot.py:162:31
	v_lshl_add_u64 v[2:3], v[14:15], 2, s[6:7]
	.loc	1 162 40 is_stmt 0              ; softmax_aot.py:162:40
	global_store_dword v[2:3], v1, off
	s_or_b64 exec, exec, s[0:1]
	s_and_saveexec_b64 s[0:1], s[28:29]
	s_cbranch_execz .LBB0_78
.LBB0_94:
	.loc	1 161 51 is_stmt 1              ; softmax_aot.py:161:51
	s_waitcnt lgkmcnt(2)
	v_sub_f32_e32 v1, v54, v66
	.loc	1 161 35 is_stmt 0              ; softmax_aot.py:161:35
	v_mul_f32_e32 v1, v39, v1
	.loc	1 162 31 is_stmt 1              ; softmax_aot.py:162:31
	v_lshl_add_u64 v[2:3], v[16:17], 2, s[6:7]
	.loc	1 162 40 is_stmt 0              ; softmax_aot.py:162:40
	global_store_dword v[2:3], v1, off
	s_or_b64 exec, exec, s[0:1]
	s_and_saveexec_b64 s[0:1], s[30:31]
	s_cbranch_execz .LBB0_79
.LBB0_95:
	.loc	1 161 51 is_stmt 1              ; softmax_aot.py:161:51
	s_waitcnt lgkmcnt(1)
	v_sub_f32_e32 v1, v61, v41
	.loc	1 161 35 is_stmt 0              ; softmax_aot.py:161:35
	v_mul_f32_e32 v1, v43, v1
	.loc	1 162 31 is_stmt 1              ; softmax_aot.py:162:31
	v_lshl_add_u64 v[2:3], v[18:19], 2, s[6:7]
	.loc	1 162 40 is_stmt 0              ; softmax_aot.py:162:40
	global_store_dword v[2:3], v1, off
	s_or_b64 exec, exec, s[0:1]
	s_and_saveexec_b64 s[0:1], s[34:35]
	s_cbranch_execz .LBB0_80
.LBB0_96:
	.loc	1 161 51 is_stmt 1              ; softmax_aot.py:161:51
	s_waitcnt lgkmcnt(1)
	v_sub_f32_e32 v1, v56, v41
	.loc	1 161 35 is_stmt 0              ; softmax_aot.py:161:35
	v_mul_f32_e32 v1, v42, v1
	.loc	1 162 31 is_stmt 1              ; softmax_aot.py:162:31
	v_lshl_add_u64 v[2:3], v[20:21], 2, s[6:7]
	.loc	1 162 40 is_stmt 0              ; softmax_aot.py:162:40
	global_store_dword v[2:3], v1, off
	s_or_b64 exec, exec, s[0:1]
	s_and_saveexec_b64 s[0:1], s[36:37]
	s_cbranch_execz .LBB0_81
.LBB0_97:
	.loc	1 161 51 is_stmt 1              ; softmax_aot.py:161:51
	s_waitcnt lgkmcnt(1)
	v_sub_f32_e32 v1, v63, v41
	.loc	1 161 35 is_stmt 0              ; softmax_aot.py:161:35
	v_mul_f32_e32 v1, v45, v1
	.loc	1 162 31 is_stmt 1              ; softmax_aot.py:162:31
	v_lshl_add_u64 v[2:3], v[22:23], 2, s[6:7]
	.loc	1 162 40 is_stmt 0              ; softmax_aot.py:162:40
	global_store_dword v[2:3], v1, off
	s_or_b64 exec, exec, s[0:1]
	s_and_saveexec_b64 s[0:1], s[38:39]
	s_cbranch_execz .LBB0_82
.LBB0_98:
	.loc	1 161 51 is_stmt 1              ; softmax_aot.py:161:51
	s_waitcnt lgkmcnt(1)
	v_sub_f32_e32 v1, v58, v41
	.loc	1 161 35 is_stmt 0              ; softmax_aot.py:161:35
	v_mul_f32_e32 v1, v44, v1
	.loc	1 162 31 is_stmt 1              ; softmax_aot.py:162:31
	v_lshl_add_u64 v[2:3], v[24:25], 2, s[6:7]
	.loc	1 162 40 is_stmt 0              ; softmax_aot.py:162:40
	global_store_dword v[2:3], v1, off
	s_or_b64 exec, exec, s[0:1]
	s_and_saveexec_b64 s[0:1], s[8:9]
	s_cbranch_execz .LBB0_83
.LBB0_99:
	.loc	1 161 51 is_stmt 1              ; softmax_aot.py:161:51
	s_waitcnt lgkmcnt(0)
	v_sub_f32_e32 v1, v64, v0
	.loc	1 161 35 is_stmt 0              ; softmax_aot.py:161:35
	v_mul_f32_e32 v1, v47, v1
	.loc	1 162 31 is_stmt 1              ; softmax_aot.py:162:31
	v_lshl_add_u64 v[2:3], v[26:27], 2, s[6:7]
	.loc	1 162 40 is_stmt 0              ; softmax_aot.py:162:40
	global_store_dword v[2:3], v1, off
	s_or_b64 exec, exec, s[0:1]
	s_and_saveexec_b64 s[0:1], s[40:41]
	s_cbranch_execz .LBB0_84
.LBB0_100:
	.loc	1 161 51 is_stmt 1              ; softmax_aot.py:161:51
	s_waitcnt lgkmcnt(0)
	v_sub_f32_e32 v1, v60, v0
	.loc	1 161 35 is_stmt 0              ; softmax_aot.py:161:35
	v_mul_f32_e32 v1, v46, v1
	.loc	1 162 31 is_stmt 1              ; softmax_aot.py:162:31
	v_lshl_add_u64 v[2:3], v[28:29], 2, s[6:7]
	.loc	1 162 40 is_stmt 0              ; softmax_aot.py:162:40
	global_store_dword v[2:3], v1, off
	s_or_b64 exec, exec, s[0:1]
	s_and_saveexec_b64 s[0:1], s[12:13]
	s_cbranch_execz .LBB0_85
.LBB0_101:
	.loc	1 161 51 is_stmt 1              ; softmax_aot.py:161:51
	s_waitcnt lgkmcnt(0)
	v_sub_f32_e32 v1, v65, v0
	.loc	1 161 35 is_stmt 0              ; softmax_aot.py:161:35
	v_mul_f32_e32 v1, v49, v1
	.loc	1 162 31 is_stmt 1              ; softmax_aot.py:162:31
	v_lshl_add_u64 v[2:3], v[30:31], 2, s[6:7]
	.loc	1 162 40 is_stmt 0              ; softmax_aot.py:162:40
	global_store_dword v[2:3], v1, off
	s_or_b64 exec, exec, s[0:1]
	s_and_saveexec_b64 s[0:1], s[10:11]
	s_cbranch_execz .LBB0_86
.LBB0_102:
	.loc	1 161 51 is_stmt 1              ; softmax_aot.py:161:51
	s_waitcnt lgkmcnt(0)
	v_sub_f32_e32 v0, v62, v0
	.loc	1 161 35 is_stmt 0              ; softmax_aot.py:161:35
	v_mul_f32_e32 v2, v48, v0
	.loc	1 162 31 is_stmt 1              ; softmax_aot.py:162:31
	v_lshl_add_u64 v[0:1], v[32:33], 2, s[6:7]
	.loc	1 162 40 is_stmt 0              ; softmax_aot.py:162:40
	global_store_dword v[0:1], v2, off
	.loc	1 154 4 is_stmt 1               ; softmax_aot.py:154:4
	s_endpgm
.Ltmp26:
	.section	.rodata,"a",@progbits
	.p2align	6, 0x0
	.amdhsa_kernel softmax_backward_kernel_inner
		.amdhsa_group_segment_fixed_size 0
		.amdhsa_private_segment_fixed_size 0
		.amdhsa_kernarg_size 48
		.amdhsa_user_sgpr_count 14
		.amdhsa_user_sgpr_dispatch_ptr 0
		.amdhsa_user_sgpr_queue_ptr 0
		.amdhsa_user_sgpr_kernarg_segment_ptr 1
		.amdhsa_user_sgpr_dispatch_id 0
		.amdhsa_user_sgpr_kernarg_preload_length 12
		.amdhsa_user_sgpr_kernarg_preload_offset 0
		.amdhsa_user_sgpr_private_segment_size 0
		.amdhsa_uses_dynamic_stack 0
		.amdhsa_enable_private_segment 0
		.amdhsa_system_sgpr_workgroup_id_x 1
		.amdhsa_system_sgpr_workgroup_id_y 0
		.amdhsa_system_sgpr_workgroup_id_z 0
		.amdhsa_system_sgpr_workgroup_info 0
		.amdhsa_system_vgpr_workitem_id 0
		.amdhsa_next_free_vgpr 71
		.amdhsa_next_free_sgpr 45
		.amdhsa_accum_offset 72
		.amdhsa_reserve_vcc 1
		.amdhsa_reserve_xnack_mask 1
		.amdhsa_float_round_mode_32 0
		.amdhsa_float_round_mode_16_64 0
		.amdhsa_float_denorm_mode_32 3
		.amdhsa_float_denorm_mode_16_64 3
		.amdhsa_dx10_clamp 1
		.amdhsa_ieee_mode 1
		.amdhsa_fp16_overflow 0
		.amdhsa_tg_split 0
		.amdhsa_exception_fp_ieee_invalid_op 0
		.amdhsa_exception_fp_denorm_src 0
		.amdhsa_exception_fp_ieee_div_zero 0
		.amdhsa_exception_fp_ieee_overflow 0
		.amdhsa_exception_fp_ieee_underflow 0
		.amdhsa_exception_fp_ieee_inexact 0
		.amdhsa_exception_int_div_zero 0
	.end_amdhsa_kernel
	.text
.Lfunc_end0:
	.size	softmax_backward_kernel_inner, .Lfunc_end0-softmax_backward_kernel_inner
	.cfi_endproc
                                        ; -- End function
	.set softmax_backward_kernel_inner.num_vgpr, 71
	.set softmax_backward_kernel_inner.num_agpr, 0
	.set softmax_backward_kernel_inner.numbered_sgpr, 45
	.set softmax_backward_kernel_inner.num_named_barrier, 0
	.set softmax_backward_kernel_inner.private_seg_size, 0
	.set softmax_backward_kernel_inner.uses_vcc, 1
	.set softmax_backward_kernel_inner.uses_flat_scratch, 0
	.set softmax_backward_kernel_inner.has_dyn_sized_stack, 0
	.set softmax_backward_kernel_inner.has_recursion, 0
	.set softmax_backward_kernel_inner.has_indirect_call, 0
	.section	.AMDGPU.csdata,"",@progbits
; Kernel info:
; codeLenInByte = 3052
; TotalNumSgprs: 51
; NumVgprs: 71
; NumAgprs: 0
; TotalNumVgprs: 71
; ScratchSize: 0
; MemoryBound: 0
; FloatMode: 240
; IeeeMode: 1
; LDSByteSize: 0 bytes/workgroup (compile time only)
; SGPRBlocks: 6
; VGPRBlocks: 8
; NumSGPRsForWavesPerEU: 51
; NumVGPRsForWavesPerEU: 71
; AccumOffset: 72
; Occupancy: 7
; WaveLimiterHint : 0
; COMPUTE_PGM_RSRC2:SCRATCH_EN: 0
; COMPUTE_PGM_RSRC2:USER_SGPR: 14
; COMPUTE_PGM_RSRC2:TRAP_HANDLER: 0
; COMPUTE_PGM_RSRC2:TGID_X_EN: 1
; COMPUTE_PGM_RSRC2:TGID_Y_EN: 0
; COMPUTE_PGM_RSRC2:TGID_Z_EN: 0
; COMPUTE_PGM_RSRC2:TIDIG_COMP_CNT: 0
; COMPUTE_PGM_RSRC3_GFX90A:ACCUM_OFFSET: 17
; COMPUTE_PGM_RSRC3_GFX90A:TG_SPLIT: 0
	.text
	.p2alignl 6, 3212836864
	.fill 256, 4, 3212836864
	.section	.AMDGPU.gpr_maximums,"",@progbits
	.set amdgpu.max_num_vgpr, 0
	.set amdgpu.max_num_agpr, 0
	.set amdgpu.max_num_sgpr, 0
	.set amdgpu.max_num_named_barrier, 0
	.text
	.section	.debug_abbrev,"",@progbits
	.byte	1                               ; Abbreviation Code
	.byte	17                              ; DW_TAG_compile_unit
	.byte	1                               ; DW_CHILDREN_yes
	.byte	37                              ; DW_AT_producer
	.byte	14                              ; DW_FORM_strp
	.byte	19                              ; DW_AT_language
	.byte	5                               ; DW_FORM_data2
	.byte	3                               ; DW_AT_name
	.byte	14                              ; DW_FORM_strp
	.byte	16                              ; DW_AT_stmt_list
	.byte	23                              ; DW_FORM_sec_offset
	.byte	27                              ; DW_AT_comp_dir
	.byte	14                              ; DW_FORM_strp
	.byte	17                              ; DW_AT_low_pc
	.byte	1                               ; DW_FORM_addr
	.byte	18                              ; DW_AT_high_pc
	.byte	6                               ; DW_FORM_data4
	.byte	0                               ; EOM(1)
	.byte	0                               ; EOM(2)
	.byte	2                               ; Abbreviation Code
	.byte	46                              ; DW_TAG_subprogram
	.byte	0                               ; DW_CHILDREN_no
	.byte	3                               ; DW_AT_name
	.byte	14                              ; DW_FORM_strp
	.byte	32                              ; DW_AT_inline
	.byte	11                              ; DW_FORM_data1
	.byte	0                               ; EOM(1)
	.byte	0                               ; EOM(2)
	.byte	3                               ; Abbreviation Code
	.byte	46                              ; DW_TAG_subprogram
	.byte	1                               ; DW_CHILDREN_yes
	.byte	17                              ; DW_AT_low_pc
	.byte	1                               ; DW_FORM_addr
	.byte	18                              ; DW_AT_high_pc
	.byte	6                               ; DW_FORM_data4
	.byte	49                              ; DW_AT_abstract_origin
	.byte	19                              ; DW_FORM_ref4
	.byte	0                               ; EOM(1)
	.byte	0                               ; EOM(2)
	.byte	4                               ; Abbreviation Code
	.byte	29                              ; DW_TAG_inlined_subroutine
	.byte	1                               ; DW_CHILDREN_yes
	.byte	49                              ; DW_AT_abstract_origin
	.byte	19                              ; DW_FORM_ref4
	.byte	85                              ; DW_AT_ranges
	.byte	23                              ; DW_FORM_sec_offset
	.byte	88                              ; DW_AT_call_file
	.byte	11                              ; DW_FORM_data1
	.byte	89                              ; DW_AT_call_line
	.byte	11                              ; DW_FORM_data1
	.byte	87                              ; DW_AT_call_column
	.byte	11                              ; DW_FORM_data1
	.byte	0                               ; EOM(1)
	.byte	0                               ; EOM(2)
	.byte	5                               ; Abbreviation Code
	.byte	29                              ; DW_TAG_inlined_subroutine
	.byte	0                               ; DW_CHILDREN_no
	.byte	49                              ; DW_AT_abstract_origin
	.byte	19                              ; DW_FORM_ref4
	.byte	85                              ; DW_AT_ranges
	.byte	23                              ; DW_FORM_sec_offset
	.byte	88                              ; DW_AT_call_file
	.byte	11                              ; DW_FORM_data1
	.byte	89                              ; DW_AT_call_line
	.byte	5                               ; DW_FORM_data2
	.byte	87                              ; DW_AT_call_column
	.byte	11                              ; DW_FORM_data1
	.byte	0                               ; EOM(1)
	.byte	0                               ; EOM(2)
	;; [unrolled: 1-line block ×3, first 2 shown]
	.section	.debug_info,"",@progbits
.Lcu_begin0:
	.long	.Ldebug_info_end0-.Ldebug_info_start0 ; Length of Unit
.Ldebug_info_start0:
	.short	4                               ; DWARF version number
	.long	.debug_abbrev                   ; Offset Into Abbrev. Section
	.byte	8                               ; Address Size (in bytes)
	.byte	1                               ; Abbrev [1] 0xb:0x52 DW_TAG_compile_unit
	.long	.Linfo_string0                  ; DW_AT_producer
	.short	2                               ; DW_AT_language
	.long	.Linfo_string1                  ; DW_AT_name
	.long	.Lline_table_start0             ; DW_AT_stmt_list
	.long	.Linfo_string2                  ; DW_AT_comp_dir
	.quad	.Lfunc_begin0                   ; DW_AT_low_pc
	.long	.Lfunc_end0-.Lfunc_begin0       ; DW_AT_high_pc
	.byte	2                               ; Abbrev [2] 0x2a:0x6 DW_TAG_subprogram
	.long	.Linfo_string3                  ; DW_AT_name
	.byte	1                               ; DW_AT_inline
	.byte	3                               ; Abbrev [3] 0x30:0x2c DW_TAG_subprogram
	.quad	.Lfunc_begin0                   ; DW_AT_low_pc
	.long	.Lfunc_end0-.Lfunc_begin0       ; DW_AT_high_pc
	.long	42                              ; DW_AT_abstract_origin
	.byte	4                               ; Abbrev [4] 0x41:0x1a DW_TAG_inlined_subroutine
	.long	42                              ; DW_AT_abstract_origin
	.long	.Ldebug_ranges0                 ; DW_AT_ranges
	.byte	1                               ; DW_AT_call_file
	.byte	160                             ; DW_AT_call_line
	.byte	49                              ; DW_AT_call_column
	.byte	5                               ; Abbrev [5] 0x4d:0xd DW_TAG_inlined_subroutine
	.long	42                              ; DW_AT_abstract_origin
	.long	.Ldebug_ranges1                 ; DW_AT_ranges
	.byte	2                               ; DW_AT_call_file
	.short	293                             ; DW_AT_call_line
	.byte	36                              ; DW_AT_call_column
	.byte	0                               ; End Of Children Mark
	.byte	0                               ; End Of Children Mark
	.byte	0                               ; End Of Children Mark
.Ldebug_info_end0:
	.section	.debug_ranges,"",@progbits
.Ldebug_ranges0:
	.quad	.Ltmp1-.Lfunc_begin0
	.quad	.Ltmp2-.Lfunc_begin0
	;; [unrolled: 1-line block ×6, first 2 shown]
	.quad	0
	.quad	0
.Ldebug_ranges1:
	.quad	.Ltmp3-.Lfunc_begin0
	.quad	.Ltmp4-.Lfunc_begin0
	;; [unrolled: 1-line block ×20, first 2 shown]
	.quad	0
	.quad	0
	.section	.debug_str,"MS",@progbits,1
.Linfo_string0:
	.asciz	"triton"                        ; string offset=0
.Linfo_string1:
	.asciz	"softmax_aot.py"                ; string offset=7
.Linfo_string2:
	.asciz	"/root/src/amdgpu-assembly/repos/FlagOpen__FlagGems/triton_aot_kernels" ; string offset=22
.Linfo_string3:
	.asciz	"softmax_backward_kernel_inner" ; string offset=92
	.section	".note.GNU-stack","",@progbits
	.amdgpu_metadata
---
amdhsa.kernels:
  - .agpr_count:     0
    .args:
      - .address_space:  global
        .offset:         0
        .size:           8
        .value_kind:     global_buffer
      - .address_space:  global
        .offset:         8
        .size:           8
        .value_kind:     global_buffer
      - .address_space:  global
        .offset:         16
        .size:           8
        .value_kind:     global_buffer
      - .offset:         24
        .size:           4
        .value_kind:     by_value
      - .offset:         28
        .size:           4
        .value_kind:     by_value
      - .address_space:  global
        .offset:         32
        .size:           8
        .value_kind:     global_buffer
      - .address_space:  global
        .offset:         40
        .size:           8
        .value_kind:     global_buffer
    .group_segment_fixed_size: 0
    .kernarg_segment_align: 8
    .kernarg_segment_size: 48
    .max_flat_workgroup_size: 256
    .name:           softmax_backward_kernel_inner
    .private_segment_fixed_size: 0
    .sgpr_count:     51
    .sgpr_spill_count: 0
    .symbol:         softmax_backward_kernel_inner.kd
    .uniform_work_group_size: 1
    .uses_dynamic_stack: false
    .vgpr_count:     71
    .vgpr_spill_count: 0
    .wavefront_size: 64
amdhsa.target:   amdgcn-amd-amdhsa--gfx950
amdhsa.version:
  - 1
  - 2
...

	.end_amdgpu_metadata
	.section	.debug_line,"",@progbits
.Lline_table_start0:
